;; amdgpu-corpus repo=ROCm/rocFFT kind=compiled arch=gfx1030 opt=O3
	.text
	.amdgcn_target "amdgcn-amd-amdhsa--gfx1030"
	.amdhsa_code_object_version 6
	.protected	fft_rtc_back_len208_factors_13_8_2_wgs_234_tpt_26_dim3_dp_ip_CI_sbcc_twdbase8_2step_dirReg ; -- Begin function fft_rtc_back_len208_factors_13_8_2_wgs_234_tpt_26_dim3_dp_ip_CI_sbcc_twdbase8_2step_dirReg
	.globl	fft_rtc_back_len208_factors_13_8_2_wgs_234_tpt_26_dim3_dp_ip_CI_sbcc_twdbase8_2step_dirReg
	.p2align	8
	.type	fft_rtc_back_len208_factors_13_8_2_wgs_234_tpt_26_dim3_dp_ip_CI_sbcc_twdbase8_2step_dirReg,@function
fft_rtc_back_len208_factors_13_8_2_wgs_234_tpt_26_dim3_dp_ip_CI_sbcc_twdbase8_2step_dirReg: ; @fft_rtc_back_len208_factors_13_8_2_wgs_234_tpt_26_dim3_dp_ip_CI_sbcc_twdbase8_2step_dirReg
; %bb.0:
	s_load_dwordx4 s[0:3], s[4:5], 0x10
	s_waitcnt lgkmcnt(0)
	s_load_dwordx2 s[14:15], s[0:1], 0x8
	s_waitcnt lgkmcnt(0)
	s_add_u32 s7, s14, -1
	s_addc_u32 s8, s15, -1
	s_add_u32 s9, 0, 0x71c4fc00
	s_addc_u32 s10, 0, 0x7c
	s_mul_hi_u32 s12, s9, -9
	s_add_i32 s10, s10, 0x1c71c6a0
	s_sub_i32 s12, s12, s9
	s_mul_i32 s16, s10, -9
	s_mul_i32 s11, s9, -9
	s_add_i32 s12, s12, s16
	s_mul_hi_u32 s13, s9, s11
	s_mul_i32 s18, s9, s12
	s_mul_hi_u32 s16, s9, s12
	s_mul_hi_u32 s17, s10, s11
	s_mul_i32 s11, s10, s11
	s_add_u32 s13, s13, s18
	s_addc_u32 s16, 0, s16
	s_mul_hi_u32 s19, s10, s12
	s_add_u32 s11, s13, s11
	s_mul_i32 s12, s10, s12
	s_addc_u32 s11, s16, s17
	s_addc_u32 s13, s19, 0
	s_add_u32 s11, s11, s12
	v_add_co_u32 v1, s9, s9, s11
	s_addc_u32 s11, 0, s13
	s_cmp_lg_u32 s9, 0
	s_addc_u32 s9, s10, s11
	v_readfirstlane_b32 s10, v1
	s_mul_i32 s12, s7, s9
	s_mul_hi_u32 s11, s7, s9
	s_mul_hi_u32 s13, s8, s9
	s_mul_i32 s9, s8, s9
	s_mul_hi_u32 s16, s7, s10
	s_mul_hi_u32 s17, s8, s10
	s_mul_i32 s10, s8, s10
	s_add_u32 s12, s16, s12
	s_addc_u32 s11, 0, s11
	s_add_u32 s10, s12, s10
	s_addc_u32 s10, s11, s17
	s_addc_u32 s11, s13, 0
	s_add_u32 s9, s10, s9
	s_addc_u32 s10, 0, s11
	s_mul_i32 s12, s9, 9
	s_add_u32 s11, s9, 1
	v_sub_co_u32 v1, s7, s7, s12
	s_mul_hi_u32 s12, s9, 9
	s_addc_u32 s13, s10, 0
	s_mul_i32 s16, s10, 9
	v_sub_co_u32 v2, s17, v1, 9
	s_add_u32 s18, s9, 2
	s_addc_u32 s19, s10, 0
	s_add_i32 s12, s12, s16
	s_cmp_lg_u32 s7, 0
	v_readfirstlane_b32 s7, v2
	s_subb_u32 s8, s8, s12
	s_cmp_lg_u32 s17, 0
	s_subb_u32 s12, s8, 0
	s_cmp_gt_u32 s7, 8
	s_cselect_b32 s7, -1, 0
	s_cmp_eq_u32 s12, 0
	v_readfirstlane_b32 s12, v1
	s_cselect_b32 s7, s7, -1
	s_cmp_lg_u32 s7, 0
	s_cselect_b32 s11, s18, s11
	s_cselect_b32 s13, s19, s13
	s_cmp_gt_u32 s12, 8
	s_mov_b64 s[18:19], 0
	s_cselect_b32 s7, -1, 0
	s_cmp_eq_u32 s8, 0
	s_cselect_b32 s7, s7, -1
	s_cmp_lg_u32 s7, 0
	s_mov_b32 s7, 0
	s_cselect_b32 s8, s11, s9
	s_cselect_b32 s9, s13, s10
	s_add_u32 s16, s8, 1
	s_addc_u32 s17, s9, 0
	v_cmp_lt_u64_e64 s8, s[6:7], s[16:17]
	s_and_b32 vcc_lo, exec_lo, s8
	s_cbranch_vccnz .LBB0_2
; %bb.1:
	v_cvt_f32_u32_e32 v1, s16
	s_sub_i32 s9, 0, s16
	s_mov_b32 s19, s7
	v_rcp_iflag_f32_e32 v1, v1
	v_mul_f32_e32 v1, 0x4f7ffffe, v1
	v_cvt_u32_f32_e32 v1, v1
	v_readfirstlane_b32 s8, v1
	s_mul_i32 s9, s9, s8
	s_mul_hi_u32 s9, s8, s9
	s_add_i32 s8, s8, s9
	s_mul_hi_u32 s8, s6, s8
	s_mul_i32 s9, s8, s16
	s_add_i32 s10, s8, 1
	s_sub_i32 s9, s6, s9
	s_sub_i32 s11, s9, s16
	s_cmp_ge_u32 s9, s16
	s_cselect_b32 s8, s10, s8
	s_cselect_b32 s9, s11, s9
	s_add_i32 s10, s8, 1
	s_cmp_ge_u32 s9, s16
	s_cselect_b32 s18, s10, s8
.LBB0_2:
	s_load_dwordx2 s[22:23], s[0:1], 0x10
	s_load_dwordx2 s[8:9], s[2:3], 0x8
	s_waitcnt lgkmcnt(0)
	v_cmp_lt_u64_e64 s0, s[18:19], s[22:23]
	s_and_b32 vcc_lo, exec_lo, s0
	s_mov_b64 s[0:1], s[18:19]
	s_cbranch_vccnz .LBB0_4
; %bb.3:
	v_cvt_f32_u32_e32 v1, s22
	s_sub_i32 s1, 0, s22
	v_rcp_iflag_f32_e32 v1, v1
	v_mul_f32_e32 v1, 0x4f7ffffe, v1
	v_cvt_u32_f32_e32 v1, v1
	v_readfirstlane_b32 s0, v1
	s_mul_i32 s1, s1, s0
	s_mul_hi_u32 s1, s0, s1
	s_add_i32 s0, s0, s1
	s_mul_hi_u32 s0, s18, s0
	s_mul_i32 s0, s0, s22
	s_sub_i32 s0, s18, s0
	s_sub_i32 s1, s0, s22
	s_cmp_ge_u32 s0, s22
	s_cselect_b32 s0, s1, s0
	s_sub_i32 s1, s0, s22
	s_cmp_ge_u32 s0, s22
	s_cselect_b32 s0, s1, s0
.LBB0_4:
	s_load_dwordx2 s[12:13], s[4:5], 0x50
	s_clause 0x1
	s_load_dwordx2 s[10:11], s[2:3], 0x0
	s_load_dwordx2 s[20:21], s[2:3], 0x10
	s_mul_i32 s1, s22, s17
	s_mul_hi_u32 s19, s22, s16
	s_mul_i32 s24, s22, s16
	s_add_i32 s1, s19, s1
	s_mul_i32 s19, s23, s16
	s_mov_b64 s[22:23], 0
	s_add_i32 s25, s1, s19
	v_cmp_lt_u64_e64 s1, s[6:7], s[24:25]
	s_and_b32 vcc_lo, exec_lo, s1
	s_cbranch_vccnz .LBB0_6
; %bb.5:
	v_cvt_f32_u32_e32 v1, s24
	s_sub_i32 s7, 0, s24
	v_rcp_iflag_f32_e32 v1, v1
	v_mul_f32_e32 v1, 0x4f7ffffe, v1
	v_cvt_u32_f32_e32 v1, v1
	v_readfirstlane_b32 s1, v1
	s_mul_i32 s7, s7, s1
	s_mul_hi_u32 s7, s1, s7
	s_add_i32 s1, s1, s7
	s_mul_hi_u32 s1, s6, s1
	s_mul_i32 s7, s1, s24
	s_add_i32 s19, s1, 1
	s_sub_i32 s7, s6, s7
	s_sub_i32 s22, s7, s24
	s_cmp_ge_u32 s7, s24
	s_cselect_b32 s1, s19, s1
	s_cselect_b32 s7, s22, s7
	s_add_i32 s19, s1, 1
	s_cmp_ge_u32 s7, s24
	s_cselect_b32 s22, s19, s1
.LBB0_6:
	s_load_dwordx2 s[2:3], s[2:3], 0x18
	s_mul_i32 s1, s18, s17
	s_mul_hi_u32 s7, s18, s16
	s_mul_i32 s16, s18, s16
	s_add_i32 s7, s7, s1
	s_sub_u32 s6, s6, s16
	s_subb_u32 s1, 0, s7
	s_mul_hi_u32 s7, s6, 9
	s_mul_i32 s1, s1, 9
	v_mul_u32_u24_e32 v1, 0x1c72, v0
	s_add_i32 s1, s7, s1
	s_mul_i32 s16, s6, 9
	s_mul_i32 s6, s8, s1
	s_mul_hi_u32 s7, s8, s16
	v_lshrrev_b32_e32 v85, 16, v1
	s_add_i32 s6, s7, s6
	s_mul_i32 s7, s9, s16
	s_waitcnt lgkmcnt(0)
	s_mul_i32 s17, s21, s0
	s_mul_hi_u32 s18, s20, s0
	s_add_i32 s6, s6, s7
	s_mul_i32 s7, s8, s16
	s_mul_i32 s0, s20, s0
	s_add_i32 s18, s18, s17
	s_add_u32 s0, s0, s7
	s_mul_i32 s3, s3, s22
	s_mul_hi_u32 s7, s2, s22
	v_mul_lo_u16 v1, v85, 9
	s_mul_i32 s2, s2, s22
	s_addc_u32 s6, s18, s6
	s_add_i32 s7, s7, s3
	s_add_u32 s2, s2, s0
	s_addc_u32 s3, s7, s6
	s_add_u32 s6, s16, 9
	v_sub_nc_u16 v86, v0, v1
	s_addc_u32 s7, s1, 0
	v_cmp_gt_u32_e64 s0, 0x90, v0
	v_cmp_le_u64_e64 s33, s[6:7], s[14:15]
	v_add_nc_u32_e32 v65, 16, v85
	v_and_b32_e32 v84, 0xffff, v86
	v_or_b32_e32 v66, 32, v85
	v_add_nc_u32_e32 v64, 48, v85
	v_or_b32_e32 v62, 64, v85
	v_add_nc_u32_e32 v63, 0x50, v85
	;; [unrolled: 2-line block ×5, first 2 shown]
	v_or_b32_e32 v55, 0xc0, v85
	s_and_b32 s7, s0, s33
                                        ; kill: def $vgpr1_vgpr2 killed $sgpr0_sgpr1 killed $exec
                                        ; implicit-def: $vgpr15_vgpr16
                                        ; implicit-def: $vgpr11_vgpr12
                                        ; implicit-def: $vgpr35_vgpr36
                                        ; implicit-def: $vgpr43_vgpr44
                                        ; implicit-def: $vgpr7_vgpr8
                                        ; implicit-def: $vgpr19_vgpr20
                                        ; implicit-def: $vgpr27_vgpr28
                                        ; implicit-def: $vgpr39_vgpr40
                                        ; implicit-def: $vgpr51_vgpr52
                                        ; implicit-def: $vgpr47_vgpr48
                                        ; implicit-def: $vgpr31_vgpr32
                                        ; implicit-def: $vgpr23_vgpr24
                                        ; implicit-def: $vgpr3_vgpr4
	s_and_saveexec_b32 s6, s7
	s_cbranch_execz .LBB0_8
; %bb.7:
	v_mad_u64_u32 v[1:2], null, s8, v84, 0
	v_mad_u64_u32 v[3:4], null, s10, v85, 0
	;; [unrolled: 1-line block ×4, first 2 shown]
	s_lshl_b64 s[18:19], s[2:3], 4
	v_mad_u64_u32 v[17:18], null, s10, v63, 0
	v_mad_u64_u32 v[9:10], null, s9, v84, v[2:3]
	;; [unrolled: 1-line block ×5, first 2 shown]
	v_mov_b32_e32 v2, v9
	s_add_u32 s7, s12, s18
	v_mov_b32_e32 v4, v10
	s_addc_u32 s17, s13, s19
	v_mov_b32_e32 v6, v11
	v_lshlrev_b64 v[1:2], 4, v[1:2]
	v_mov_b32_e32 v9, v13
	v_lshlrev_b64 v[3:4], 4, v[3:4]
	v_mad_u64_u32 v[19:20], null, s10, v60, 0
	v_mad_u64_u32 v[27:28], null, s10, v59, 0
	;; [unrolled: 1-line block ×3, first 2 shown]
	v_add_co_u32 v49, vcc_lo, s7, v1
	v_add_co_ci_u32_e32 v50, vcc_lo, s17, v2, vcc_lo
	v_lshlrev_b64 v[1:2], 4, v[5:6]
	v_add_co_u32 v3, vcc_lo, v49, v3
	v_mad_u64_u32 v[13:14], null, s11, v64, v[9:10]
	v_mov_b32_e32 v8, v10
	v_add_co_ci_u32_e32 v4, vcc_lo, v50, v4, vcc_lo
	v_add_co_u32 v9, vcc_lo, v49, v1
	v_mad_u64_u32 v[5:6], null, s10, v62, 0
	v_add_co_ci_u32_e32 v10, vcc_lo, v50, v2, vcc_lo
	v_lshlrev_b64 v[1:2], 4, v[7:8]
	v_lshlrev_b64 v[7:8], 4, v[12:13]
	v_mad_u64_u32 v[37:38], null, s10, v57, 0
	v_mad_u64_u32 v[39:40], null, s10, v55, 0
	v_add_co_u32 v11, vcc_lo, v49, v1
	v_add_co_ci_u32_e32 v12, vcc_lo, v50, v2, vcc_lo
	v_mad_u64_u32 v[1:2], null, s11, v62, v[6:7]
	v_mov_b32_e32 v2, v18
	v_add_co_u32 v7, vcc_lo, v49, v7
	v_add_co_ci_u32_e32 v8, vcc_lo, v50, v8, vcc_lo
	v_mad_u64_u32 v[25:26], null, s11, v63, v[2:3]
	v_mov_b32_e32 v6, v1
	s_clause 0x3
	global_load_dwordx4 v[1:4], v[3:4], off
	global_load_dwordx4 v[13:16], v[9:10], off
	;; [unrolled: 1-line block ×4, first 2 shown]
	v_mov_b32_e32 v7, v20
	v_lshlrev_b64 v[5:6], 4, v[5:6]
	v_mov_b32_e32 v18, v25
	v_mad_u64_u32 v[25:26], null, s10, v61, 0
	v_mad_u64_u32 v[7:8], null, s11, v60, v[7:8]
	v_lshlrev_b64 v[17:18], 4, v[17:18]
	v_add_co_u32 v5, vcc_lo, v49, v5
	v_add_co_ci_u32_e32 v6, vcc_lo, v50, v6, vcc_lo
	v_mov_b32_e32 v8, v26
	v_mov_b32_e32 v20, v7
	v_add_co_u32 v17, vcc_lo, v49, v17
	v_add_co_ci_u32_e32 v18, vcc_lo, v50, v18, vcc_lo
	v_lshlrev_b64 v[19:20], 4, v[19:20]
	s_clause 0x1
	global_load_dwordx4 v[33:36], v[5:6], off
	global_load_dwordx4 v[29:32], v[17:18], off
	v_add_co_u32 v17, vcc_lo, v49, v19
	v_add_co_ci_u32_e32 v18, vcc_lo, v50, v20, vcc_lo
	v_mad_u64_u32 v[19:20], null, s10, v58, 0
	s_waitcnt vmcnt(2)
	v_mad_u64_u32 v[7:8], null, s11, v61, v[8:9]
	v_mov_b32_e32 v8, v28
	v_mov_b32_e32 v26, v7
	v_mad_u64_u32 v[7:8], null, s11, v59, v[8:9]
	v_mov_b32_e32 v8, v38
	v_lshlrev_b64 v[5:6], 4, v[25:26]
	v_mad_u64_u32 v[25:26], null, s10, v56, 0
	v_mov_b32_e32 v28, v7
	v_mad_u64_u32 v[7:8], null, s11, v57, v[8:9]
	v_mov_b32_e32 v8, v20
	v_add_co_u32 v5, vcc_lo, v49, v5
	v_mov_b32_e32 v20, v26
	v_lshlrev_b64 v[27:28], 4, v[27:28]
	v_add_co_ci_u32_e32 v6, vcc_lo, v50, v6, vcc_lo
	v_mov_b32_e32 v38, v7
	v_mad_u64_u32 v[7:8], null, s11, v58, v[8:9]
	v_mov_b32_e32 v8, v40
	v_mad_u64_u32 v[41:42], null, s11, v56, v[20:21]
	v_lshlrev_b64 v[37:38], 4, v[37:38]
	v_add_co_u32 v27, vcc_lo, v49, v27
	v_mov_b32_e32 v20, v7
	v_mad_u64_u32 v[7:8], null, s11, v55, v[8:9]
	v_mov_b32_e32 v26, v41
	v_add_co_ci_u32_e32 v28, vcc_lo, v50, v28, vcc_lo
	v_lshlrev_b64 v[19:20], 4, v[19:20]
	v_add_co_u32 v37, vcc_lo, v49, v37
	v_mov_b32_e32 v40, v7
	s_clause 0x1
	global_load_dwordx4 v[41:44], v[17:18], off
	global_load_dwordx4 v[45:48], v[5:6], off
	v_lshlrev_b64 v[5:6], 4, v[25:26]
	v_add_co_ci_u32_e32 v38, vcc_lo, v50, v38, vcc_lo
	v_add_co_u32 v7, vcc_lo, v49, v19
	v_lshlrev_b64 v[17:18], 4, v[39:40]
	v_add_co_ci_u32_e32 v8, vcc_lo, v50, v20, vcc_lo
	v_add_co_u32 v5, vcc_lo, v49, v5
	v_add_co_ci_u32_e32 v6, vcc_lo, v50, v6, vcc_lo
	v_add_co_u32 v53, vcc_lo, v49, v17
	v_add_co_ci_u32_e32 v54, vcc_lo, v50, v18, vcc_lo
	s_clause 0x4
	global_load_dwordx4 v[49:52], v[27:28], off
	global_load_dwordx4 v[37:40], v[37:38], off
	;; [unrolled: 1-line block ×5, first 2 shown]
.LBB0_8:
	s_or_b32 exec_lo, exec_lo, s6
	s_load_dwordx2 s[6:7], s[4:5], 0x0
	v_add_co_u32 v53, s16, s16, v84
	v_add_co_ci_u32_e64 v54, null, s1, 0, s16
	s_xor_b32 s1, s33, -1
	v_cmp_gt_u64_e32 vcc_lo, s[14:15], v[53:54]
	s_and_b32 s14, s0, vcc_lo
	s_and_b32 s1, s1, s14
	s_and_saveexec_b32 s14, s1
	s_cbranch_execz .LBB0_10
; %bb.9:
	v_mad_u64_u32 v[1:2], null, s8, v84, 0
	v_mad_u64_u32 v[3:4], null, s10, v85, 0
	s_waitcnt vmcnt(0)
	v_mad_u64_u32 v[5:6], null, s10, v65, 0
	v_mad_u64_u32 v[10:11], null, s10, v64, 0
	s_lshl_b64 s[16:17], s[2:3], 4
	v_mad_u64_u32 v[17:18], null, s10, v62, 0
	v_mad_u64_u32 v[7:8], null, s9, v84, v[2:3]
	;; [unrolled: 1-line block ×4, first 2 shown]
	s_add_u32 s1, s12, s16
	s_addc_u32 s15, s13, s17
	v_mov_b32_e32 v2, v7
	v_mov_b32_e32 v7, v11
	;; [unrolled: 1-line block ×3, first 2 shown]
	v_mad_u64_u32 v[19:20], null, s10, v63, 0
	v_lshlrev_b64 v[1:2], 4, v[1:2]
	v_mad_u64_u32 v[13:14], null, s11, v65, v[6:7]
	v_mad_u64_u32 v[14:15], null, s11, v66, v[4:5]
	v_mov_b32_e32 v4, v12
	v_add_co_u32 v51, s1, s1, v1
	v_add_co_ci_u32_e64 v52, s1, s15, v2, s1
	v_lshlrev_b64 v[1:2], 4, v[3:4]
	v_mad_u64_u32 v[3:4], null, s11, v64, v[7:8]
	v_mov_b32_e32 v6, v13
	v_mov_b32_e32 v9, v14
	v_mad_u64_u32 v[25:26], null, s10, v60, 0
	v_add_co_u32 v1, s1, v51, v1
	v_lshlrev_b64 v[4:5], 4, v[5:6]
	v_mov_b32_e32 v11, v3
	v_lshlrev_b64 v[6:7], 4, v[8:9]
	v_add_co_ci_u32_e64 v2, s1, v52, v2, s1
	v_mad_u64_u32 v[27:28], null, s10, v61, 0
	v_add_co_u32 v8, s1, v51, v4
	v_lshlrev_b64 v[3:4], 4, v[10:11]
	v_add_co_ci_u32_e64 v9, s1, v52, v5, s1
	v_add_co_u32 v5, s1, v51, v6
	v_add_co_ci_u32_e64 v6, s1, v52, v7, s1
	v_mov_b32_e32 v7, v18
	v_mov_b32_e32 v10, v20
	v_add_co_u32 v11, s1, v51, v3
	v_add_co_ci_u32_e64 v12, s1, v52, v4, s1
	v_mad_u64_u32 v[20:21], null, s11, v62, v[7:8]
	v_mad_u64_u32 v[21:22], null, s11, v63, v[10:11]
	s_clause 0x1
	global_load_dwordx4 v[1:4], v[1:2], off
	global_load_dwordx4 v[13:16], v[8:9], off
	v_mad_u64_u32 v[37:38], null, s10, v59, 0
	v_mov_b32_e32 v8, v28
	v_mov_b32_e32 v18, v20
	v_mad_u64_u32 v[49:50], null, s10, v55, 0
	v_mov_b32_e32 v20, v21
	s_clause 0x1
	global_load_dwordx4 v[21:24], v[5:6], off
	global_load_dwordx4 v[9:12], v[11:12], off
	v_lshlrev_b64 v[6:7], 4, v[17:18]
	v_mov_b32_e32 v5, v26
	v_lshlrev_b64 v[17:18], 4, v[19:20]
	v_mad_u64_u32 v[19:20], null, s11, v60, v[5:6]
	v_add_co_u32 v5, s1, v51, v6
	v_add_co_ci_u32_e64 v6, s1, v52, v7, s1
	v_add_co_u32 v7, s1, v51, v17
	v_mov_b32_e32 v17, v38
	v_mov_b32_e32 v26, v19
	s_waitcnt vmcnt(0)
	v_mad_u64_u32 v[28:29], null, s11, v61, v[8:9]
	v_add_co_ci_u32_e64 v8, s1, v52, v18, s1
	v_mad_u64_u32 v[17:18], null, s11, v59, v[17:18]
	s_clause 0x1
	global_load_dwordx4 v[33:36], v[5:6], off
	global_load_dwordx4 v[29:32], v[7:8], off
	v_lshlrev_b64 v[5:6], 4, v[25:26]
	v_mad_u64_u32 v[18:19], null, s10, v57, 0
	v_mad_u64_u32 v[25:26], null, s10, v58, 0
	v_lshlrev_b64 v[7:8], 4, v[27:28]
	v_add_co_u32 v5, s1, v51, v5
	v_add_co_ci_u32_e64 v6, s1, v52, v6, s1
	v_mov_b32_e32 v38, v17
	v_mov_b32_e32 v17, v19
	v_mad_u64_u32 v[27:28], null, s10, v56, 0
	v_add_co_u32 v7, s1, v51, v7
	v_mov_b32_e32 v19, v26
	v_add_co_ci_u32_e64 v8, s1, v52, v8, s1
	v_mad_u64_u32 v[39:40], null, s11, v57, v[17:18]
	v_mad_u64_u32 v[40:41], null, s11, v58, v[19:20]
	s_clause 0x1
	global_load_dwordx4 v[41:44], v[5:6], off
	global_load_dwordx4 v[45:48], v[7:8], off
	v_lshlrev_b64 v[6:7], 4, v[37:38]
	v_mov_b32_e32 v5, v28
	v_mov_b32_e32 v19, v39
	;; [unrolled: 1-line block ×3, first 2 shown]
	v_mad_u64_u32 v[37:38], null, s11, v56, v[5:6]
	v_mov_b32_e32 v5, v50
	v_add_co_u32 v6, s1, v51, v6
	v_lshlrev_b64 v[17:18], 4, v[18:19]
	v_lshlrev_b64 v[25:26], 4, v[25:26]
	v_add_co_ci_u32_e64 v7, s1, v52, v7, s1
	v_mad_u64_u32 v[19:20], null, s11, v55, v[5:6]
	v_mov_b32_e32 v28, v37
	v_add_co_u32 v17, s1, v51, v17
	v_add_co_ci_u32_e64 v18, s1, v52, v18, s1
	v_lshlrev_b64 v[27:28], 4, v[27:28]
	v_mov_b32_e32 v50, v19
	v_add_co_u32 v19, s1, v51, v25
	v_add_co_ci_u32_e64 v20, s1, v52, v26, s1
	v_lshlrev_b64 v[25:26], 4, v[49:50]
	v_add_co_u32 v54, s1, v51, v27
	v_add_co_ci_u32_e64 v55, s1, v52, v28, s1
	v_add_co_u32 v56, s1, v51, v25
	v_add_co_ci_u32_e64 v57, s1, v52, v26, s1
	s_clause 0x4
	global_load_dwordx4 v[49:52], v[6:7], off
	global_load_dwordx4 v[37:40], v[17:18], off
	;; [unrolled: 1-line block ×5, first 2 shown]
.LBB0_10:
	s_or_b32 exec_lo, exec_lo, s14
	s_and_saveexec_b32 s50, s0
	s_cbranch_execz .LBB0_12
; %bb.11:
	v_add_f64 v[54:55], v[15:16], v[3:4]
	v_add_f64 v[56:57], v[13:14], v[1:2]
	s_waitcnt vmcnt(0)
	v_add_f64 v[82:83], v[13:14], -v[5:6]
	v_add_f64 v[78:79], v[13:14], v[5:6]
	v_add_f64 v[72:73], v[21:22], -v[17:18]
	v_add_f64 v[74:75], v[17:18], v[21:22]
	;; [unrolled: 2-line block ×3, first 2 shown]
	v_add_f64 v[13:14], v[11:12], -v[27:28]
	v_add_f64 v[64:65], v[29:30], -v[49:50]
	s_mov_b32 s14, 0x4bc48dbf
	s_mov_b32 s0, 0x93053d00
	;; [unrolled: 1-line block ×8, first 2 shown]
	v_add_f64 v[76:77], v[15:16], v[7:8]
	v_add_f64 v[80:81], v[15:16], -v[7:8]
	v_add_f64 v[70:71], v[9:10], -v[25:26]
	v_add_f64 v[68:69], v[9:10], v[25:26]
	v_add_f64 v[54:55], v[23:24], v[54:55]
	;; [unrolled: 1-line block ×5, first 2 shown]
	v_mul_f64 v[93:94], v[82:83], s[24:25]
	v_mul_f64 v[97:98], v[78:79], s[26:27]
	s_mov_b32 s16, 0x4267c47c
	s_mov_b32 s18, 0xe00740e9
	;; [unrolled: 1-line block ×16, first 2 shown]
	v_add_f64 v[54:55], v[11:12], v[54:55]
	v_add_f64 v[56:57], v[9:10], v[56:57]
	v_add_f64 v[11:12], v[31:32], -v[51:52]
	v_add_f64 v[9:10], v[43:44], -v[47:48]
	v_mul_f64 v[101:102], v[72:73], s[40:41]
	v_mul_f64 v[103:104], v[82:83], s[38:39]
	;; [unrolled: 1-line block ×4, first 2 shown]
	v_fma_f64 v[125:126], v[76:77], s[26:27], v[93:94]
	v_fma_f64 v[93:94], v[76:77], s[26:27], -v[93:94]
	s_mov_b32 s30, 0x42a4c3d2
	s_mov_b32 s23, 0xbfddbe06
	s_mov_b32 s31, 0x3fea55e2
	s_mov_b32 s37, 0xbfea55e2
	s_mov_b32 s47, 0x3fedeba7
	s_mov_b32 s49, 0xbfefc445
	s_mov_b32 s22, s16
	s_mov_b32 s36, s30
	s_mov_b32 s46, s38
	s_mov_b32 s48, s40
	v_mul_f64 v[113:114], v[72:73], s[28:29]
	v_mul_f64 v[115:116], v[74:75], s[26:27]
	v_add_f64 v[54:55], v[35:36], v[54:55]
	v_add_f64 v[56:57], v[33:34], v[56:57]
	;; [unrolled: 1-line block ×3, first 2 shown]
	v_mul_f64 v[117:118], v[70:71], s[36:37]
	s_mov_b32 s34, 0x1ea71119
	v_fma_f64 v[133:134], v[76:77], s[42:43], v[103:104]
	v_fma_f64 v[139:140], v[80:81], s[46:47], v[105:106]
	v_fma_f64 v[103:104], v[76:77], s[42:43], -v[103:104]
	v_add_f64 v[125:126], v[125:126], v[3:4]
	v_add_f64 v[93:94], v[93:94], v[3:4]
	s_mov_b32 s35, 0x3fe22d96
	v_mul_f64 v[121:122], v[70:71], s[16:17]
	v_mul_f64 v[91:92], v[60:61], s[34:35]
	;; [unrolled: 1-line block ×8, first 2 shown]
	v_fma_f64 v[105:106], v[80:81], s[38:39], v[105:106]
	v_add_f64 v[54:55], v[31:32], v[54:55]
	v_add_f64 v[56:57], v[29:30], v[56:57]
	;; [unrolled: 1-line block ×9, first 2 shown]
	v_add_f64 v[54:55], v[23:24], -v[19:20]
	v_add_f64 v[23:24], v[41:42], v[45:46]
	v_mul_f64 v[43:44], v[82:83], s[14:15]
	v_add_f64 v[87:88], v[47:48], v[58:59]
	v_add_f64 v[89:90], v[45:46], v[62:63]
	;; [unrolled: 1-line block ×4, first 2 shown]
	v_add_f64 v[29:30], v[35:36], -v[39:40]
	v_add_f64 v[35:36], v[41:42], -v[45:46]
	v_mul_f64 v[45:46], v[78:79], s[0:1]
	v_mul_f64 v[47:48], v[72:73], s[16:17]
	v_fma_f64 v[107:108], v[76:77], s[0:1], v[43:44]
	v_fma_f64 v[43:44], v[76:77], s[0:1], -v[43:44]
	v_fma_f64 v[141:142], v[56:57], s[44:45], v[101:102]
	v_add_f64 v[31:32], v[51:52], v[87:88]
	v_add_f64 v[41:42], v[49:50], v[89:90]
	v_mul_f64 v[49:50], v[74:75], s[18:19]
	v_mul_f64 v[51:52], v[70:71], s[24:25]
	;; [unrolled: 1-line block ×4, first 2 shown]
	v_fma_f64 v[111:112], v[80:81], s[20:21], v[45:46]
	v_fma_f64 v[45:46], v[80:81], s[14:15], v[45:46]
	;; [unrolled: 1-line block ×3, first 2 shown]
	v_add_f64 v[107:108], v[107:108], v[3:4]
	v_fma_f64 v[47:48], v[56:57], s[18:19], -v[47:48]
	v_add_f64 v[43:44], v[43:44], v[3:4]
	v_add_f64 v[125:126], v[125:126], v[141:142]
	v_mul_f64 v[99:100], v[62:63], s[42:43]
	v_mul_f64 v[141:142], v[62:63], s[18:19]
	v_add_f64 v[39:40], v[39:40], v[31:32]
	v_add_f64 v[41:42], v[37:38], v[41:42]
	v_fma_f64 v[135:136], v[54:55], s[22:23], v[49:50]
	v_fma_f64 v[49:50], v[54:55], s[16:17], v[49:50]
	v_mul_f64 v[37:38], v[35:36], s[40:41]
	v_mul_f64 v[31:32], v[23:24], s[44:45]
	v_add_f64 v[111:112], v[111:112], v[1:2]
	v_add_f64 v[45:46], v[45:46], v[1:2]
	;; [unrolled: 1-line block ×3, first 2 shown]
	v_fma_f64 v[131:132], v[21:22], s[26:27], v[51:52]
	v_add_f64 v[43:44], v[43:44], v[47:48]
	v_fma_f64 v[47:48], v[54:55], s[24:25], v[115:116]
	v_fma_f64 v[51:52], v[21:22], s[26:27], -v[51:52]
	v_fma_f64 v[115:116], v[54:55], s[28:29], v[115:116]
	v_add_f64 v[27:28], v[27:28], v[39:40]
	v_add_f64 v[25:26], v[25:26], v[41:42]
	v_fma_f64 v[41:42], v[80:81], s[28:29], v[97:98]
	v_fma_f64 v[97:98], v[80:81], s[24:25], v[97:98]
	v_mul_f64 v[39:40], v[66:67], s[20:21]
	v_add_f64 v[111:112], v[135:136], v[111:112]
	v_fma_f64 v[135:136], v[13:14], s[28:29], v[87:88]
	v_add_f64 v[45:46], v[49:50], v[45:46]
	v_fma_f64 v[87:88], v[13:14], s[24:25], v[87:88]
	v_add_f64 v[107:108], v[131:132], v[107:108]
	v_fma_f64 v[131:132], v[58:59], s[34:35], v[89:90]
	v_add_f64 v[47:48], v[47:48], v[139:140]
	v_add_f64 v[43:44], v[51:52], v[43:44]
	v_fma_f64 v[51:52], v[13:14], s[22:23], v[123:124]
	v_fma_f64 v[89:90], v[58:59], s[34:35], -v[89:90]
	v_mul_f64 v[49:50], v[64:65], s[16:17]
	v_mul_f64 v[139:140], v[62:63], s[0:1]
	v_fma_f64 v[123:124], v[13:14], s[16:17], v[123:124]
	v_add_f64 v[105:106], v[115:116], v[105:106]
	v_add_f64 v[27:28], v[19:20], v[27:28]
	;; [unrolled: 1-line block ×3, first 2 shown]
	v_fma_f64 v[17:18], v[54:55], s[48:49], v[109:110]
	v_add_f64 v[19:20], v[41:42], v[1:2]
	v_fma_f64 v[41:42], v[56:57], s[44:45], -v[101:102]
	v_fma_f64 v[101:102], v[54:55], s[40:41], v[109:110]
	v_add_f64 v[97:98], v[97:98], v[1:2]
	v_fma_f64 v[109:110], v[56:57], s[26:27], v[113:114]
	v_fma_f64 v[113:114], v[56:57], s[26:27], -v[113:114]
	v_add_f64 v[111:112], v[135:136], v[111:112]
	v_fma_f64 v[135:136], v[29:30], s[36:37], v[91:92]
	v_add_f64 v[45:46], v[87:88], v[45:46]
	v_fma_f64 v[91:92], v[29:30], s[30:31], v[91:92]
	v_mul_f64 v[87:88], v[72:73], s[36:37]
	v_add_f64 v[107:108], v[131:132], v[107:108]
	v_fma_f64 v[131:132], v[33:34], s[42:43], v[95:96]
	v_add_f64 v[47:48], v[51:52], v[47:48]
	v_add_f64 v[43:44], v[89:90], v[43:44]
	v_fma_f64 v[89:90], v[58:59], s[44:45], v[129:130]
	v_mul_f64 v[51:52], v[70:71], s[48:49]
	v_fma_f64 v[129:130], v[58:59], s[44:45], -v[129:130]
	v_fma_f64 v[95:96], v[33:34], s[42:43], -v[95:96]
	v_fma_f64 v[143:144], v[33:34], s[18:19], v[49:50]
	v_fma_f64 v[49:50], v[33:34], s[18:19], -v[49:50]
	v_add_f64 v[7:8], v[7:8], v[27:28]
	v_add_f64 v[17:18], v[17:18], v[19:20]
	v_fma_f64 v[19:20], v[21:22], s[34:35], v[117:118]
	v_add_f64 v[41:42], v[93:94], v[41:42]
	v_fma_f64 v[117:118], v[21:22], s[34:35], -v[117:118]
	v_fma_f64 v[93:94], v[13:14], s[30:31], v[119:120]
	v_add_f64 v[97:98], v[101:102], v[97:98]
	v_mul_f64 v[101:102], v[82:83], s[22:23]
	v_add_f64 v[109:110], v[133:134], v[109:110]
	v_fma_f64 v[119:120], v[13:14], s[36:37], v[119:120]
	v_add_f64 v[103:104], v[103:104], v[113:114]
	v_fma_f64 v[113:114], v[21:22], s[18:19], v[121:122]
	v_fma_f64 v[121:122], v[21:22], s[18:19], -v[121:122]
	v_add_f64 v[111:112], v[135:136], v[111:112]
	v_fma_f64 v[135:136], v[11:12], s[46:47], v[99:100]
	v_add_f64 v[45:46], v[91:92], v[45:46]
	v_fma_f64 v[91:92], v[29:30], s[40:41], v[137:138]
	v_mul_f64 v[133:134], v[64:65], s[20:21]
	v_add_f64 v[107:108], v[131:132], v[107:108]
	v_fma_f64 v[131:132], v[9:10], s[48:49], v[31:32]
	v_fma_f64 v[99:100], v[11:12], s[38:39], v[99:100]
	v_add_f64 v[43:44], v[95:96], v[43:44]
	v_mul_f64 v[27:28], v[78:79], s[34:35]
	v_add_f64 v[5:6], v[5:6], v[25:26]
	v_add_f64 v[19:20], v[19:20], v[125:126]
	v_mul_f64 v[125:126], v[82:83], s[48:49]
	v_add_f64 v[41:42], v[117:118], v[41:42]
	v_fma_f64 v[117:118], v[58:59], s[0:1], v[39:40]
	v_add_f64 v[17:18], v[93:94], v[17:18]
	v_fma_f64 v[39:40], v[58:59], s[0:1], -v[39:40]
	v_mul_f64 v[93:94], v[78:79], s[44:45]
	v_add_f64 v[97:98], v[119:120], v[97:98]
	v_mul_f64 v[119:120], v[78:79], s[18:19]
	v_add_f64 v[109:110], v[113:114], v[109:110]
	v_fma_f64 v[113:114], v[29:30], s[14:15], v[127:128]
	v_fma_f64 v[127:128], v[29:30], s[20:21], v[127:128]
	v_add_f64 v[103:104], v[121:122], v[103:104]
	v_fma_f64 v[121:122], v[15:16], s[44:45], v[37:38]
	v_add_f64 v[111:112], v[135:136], v[111:112]
	v_mul_f64 v[135:136], v[74:75], s[34:35]
	v_add_f64 v[47:48], v[91:92], v[47:48]
	v_fma_f64 v[91:92], v[56:57], s[34:35], -v[87:88]
	v_mul_f64 v[82:83], v[82:83], s[36:37]
	v_add_f64 v[45:46], v[99:100], v[45:46]
	v_add_f64 v[99:100], v[123:124], v[105:106]
	v_mul_f64 v[105:106], v[66:67], s[38:39]
	v_mul_f64 v[123:124], v[70:71], s[46:47]
	;; [unrolled: 1-line block ×3, first 2 shown]
	v_fma_f64 v[37:38], v[15:16], s[44:45], -v[37:38]
	v_add_f64 v[117:118], v[117:118], v[19:20]
	v_fma_f64 v[19:20], v[76:77], s[18:19], -v[101:102]
	v_add_f64 v[39:40], v[39:40], v[41:42]
	v_fma_f64 v[41:42], v[11:12], s[22:23], v[141:142]
	v_fma_f64 v[141:142], v[11:12], s[16:17], v[141:142]
	;; [unrolled: 1-line block ×3, first 2 shown]
	v_add_f64 v[89:90], v[89:90], v[109:110]
	v_add_f64 v[113:114], v[113:114], v[17:18]
	;; [unrolled: 1-line block ×3, first 2 shown]
	v_fma_f64 v[109:110], v[11:12], s[14:15], v[139:140]
	v_fma_f64 v[127:128], v[33:34], s[0:1], v[133:134]
	v_add_f64 v[17:18], v[131:132], v[111:112]
	v_fma_f64 v[111:112], v[76:77], s[44:45], v[125:126]
	v_add_f64 v[103:104], v[129:130], v[103:104]
	v_fma_f64 v[95:96], v[80:81], s[40:41], v[93:94]
	v_fma_f64 v[125:126], v[76:77], s[44:45], -v[125:126]
	v_fma_f64 v[93:94], v[80:81], s[48:49], v[93:94]
	v_mul_f64 v[131:132], v[68:69], s[42:43]
	v_fma_f64 v[139:140], v[11:12], s[20:21], v[139:140]
	v_fma_f64 v[31:32], v[9:10], s[40:41], v[31:32]
	v_add_f64 v[25:26], v[143:144], v[117:118]
	v_add_f64 v[145:146], v[19:20], v[3:4]
	;; [unrolled: 1-line block ×3, first 2 shown]
	v_mul_f64 v[107:108], v[72:73], s[14:15]
	v_mul_f64 v[121:122], v[74:75], s[0:1]
	v_add_f64 v[39:40], v[49:50], v[39:40]
	v_fma_f64 v[49:50], v[33:34], s[0:1], -v[133:134]
	v_add_f64 v[41:42], v[41:42], v[113:114]
	v_add_f64 v[78:79], v[141:142], v[97:98]
	;; [unrolled: 1-line block ×3, first 2 shown]
	v_fma_f64 v[97:98], v[21:22], s[44:45], -v[51:52]
	v_add_f64 v[109:110], v[115:116], v[1:2]
	v_fma_f64 v[113:114], v[54:55], s[36:37], v[135:136]
	v_mul_f64 v[115:116], v[68:69], s[44:45]
	v_fma_f64 v[133:134], v[76:77], s[34:35], v[82:83]
	v_mul_f64 v[72:73], v[72:73], s[38:39]
	v_add_f64 v[89:90], v[127:128], v[89:90]
	v_add_f64 v[111:112], v[111:112], v[3:4]
	v_fma_f64 v[127:128], v[29:30], s[48:49], v[137:138]
	v_add_f64 v[95:96], v[95:96], v[1:2]
	v_fma_f64 v[82:83], v[76:77], s[34:35], -v[82:83]
	v_fma_f64 v[137:138], v[80:81], s[30:31], v[27:28]
	v_fma_f64 v[76:77], v[76:77], s[18:19], v[101:102]
	v_add_f64 v[91:92], v[145:146], v[91:92]
	v_fma_f64 v[27:28], v[80:81], s[36:37], v[27:28]
	v_fma_f64 v[117:118], v[56:57], s[0:1], v[107:108]
	;; [unrolled: 1-line block ×3, first 2 shown]
	v_mul_f64 v[101:102], v[64:65], s[24:25]
	v_add_f64 v[49:50], v[49:50], v[103:104]
	v_mul_f64 v[74:75], v[74:75], s[42:43]
	v_fma_f64 v[80:81], v[80:81], s[16:17], v[119:120]
	v_add_f64 v[119:120], v[125:126], v[3:4]
	v_fma_f64 v[107:108], v[56:57], s[0:1], -v[107:108]
	v_add_f64 v[93:94], v[93:94], v[1:2]
	v_add_f64 v[103:104], v[113:114], v[109:110]
	v_fma_f64 v[109:110], v[13:14], s[48:49], v[115:116]
	v_add_f64 v[133:134], v[133:134], v[3:4]
	v_fma_f64 v[121:122], v[54:55], s[14:15], v[121:122]
	v_fma_f64 v[141:142], v[56:57], s[42:43], v[72:73]
	;; [unrolled: 1-line block ×3, first 2 shown]
	v_add_f64 v[99:100], v[127:128], v[99:100]
	v_fma_f64 v[125:126], v[13:14], s[38:39], v[131:132]
	v_mul_f64 v[127:128], v[66:67], s[16:17]
	v_add_f64 v[137:138], v[137:138], v[1:2]
	v_add_f64 v[82:83], v[82:83], v[3:4]
	;; [unrolled: 1-line block ×3, first 2 shown]
	v_fma_f64 v[97:98], v[58:59], s[42:43], -v[105:106]
	v_add_f64 v[111:112], v[111:112], v[117:118]
	v_add_f64 v[95:96], v[129:130], v[95:96]
	v_mul_f64 v[68:69], v[68:69], s[0:1]
	v_fma_f64 v[72:73], v[56:57], s[42:43], -v[72:73]
	v_add_f64 v[27:28], v[27:28], v[1:2]
	v_add_f64 v[76:77], v[76:77], v[3:4]
	;; [unrolled: 1-line block ×3, first 2 shown]
	v_fma_f64 v[56:57], v[56:57], s[34:35], v[87:88]
	v_mul_f64 v[117:118], v[60:61], s[42:43]
	v_add_f64 v[107:108], v[119:120], v[107:108]
	v_add_f64 v[103:104], v[109:110], v[103:104]
	v_fma_f64 v[109:110], v[54:55], s[46:47], v[74:75]
	v_fma_f64 v[74:75], v[54:55], s[38:39], v[74:75]
	;; [unrolled: 1-line block ×3, first 2 shown]
	v_fma_f64 v[3:4], v[21:22], s[42:43], -v[123:124]
	v_add_f64 v[80:81], v[121:122], v[93:94]
	v_add_f64 v[121:122], v[133:134], v[141:142]
	v_fma_f64 v[123:124], v[21:22], s[0:1], v[70:71]
	v_mul_f64 v[66:67], v[66:67], s[28:29]
	v_mul_f64 v[129:130], v[60:61], s[18:19]
	v_fma_f64 v[93:94], v[13:14], s[46:47], v[131:132]
	v_add_f64 v[91:92], v[97:98], v[91:92]
	v_fma_f64 v[97:98], v[33:34], s[26:27], -v[101:102]
	v_add_f64 v[111:112], v[113:114], v[111:112]
	v_add_f64 v[95:96], v[125:126], v[95:96]
	v_fma_f64 v[125:126], v[58:59], s[18:19], v[127:128]
	v_add_f64 v[72:73], v[82:83], v[72:73]
	v_fma_f64 v[70:71], v[21:22], s[0:1], -v[70:71]
	v_mul_f64 v[60:61], v[60:61], s[26:27]
	v_fma_f64 v[21:22], v[21:22], s[44:45], v[51:52]
	v_add_f64 v[56:57], v[76:77], v[56:57]
	v_fma_f64 v[113:114], v[29:30], s[38:39], v[117:118]
	v_mul_f64 v[51:52], v[62:63], s[26:27]
	v_mul_f64 v[131:132], v[35:36], s[38:39]
	v_add_f64 v[27:28], v[74:75], v[27:28]
	v_add_f64 v[1:2], v[54:55], v[1:2]
	;; [unrolled: 1-line block ×4, first 2 shown]
	v_mul_f64 v[54:55], v[62:63], s[34:35]
	v_add_f64 v[37:38], v[123:124], v[121:122]
	v_fma_f64 v[76:77], v[58:59], s[26:27], v[66:67]
	v_fma_f64 v[66:67], v[58:59], s[26:27], -v[66:67]
	v_add_f64 v[74:75], v[93:94], v[80:81]
	v_fma_f64 v[93:94], v[29:30], s[16:17], v[129:130]
	v_add_f64 v[91:92], v[97:98], v[91:92]
	v_add_f64 v[97:98], v[109:110], v[137:138]
	v_fma_f64 v[109:110], v[13:14], s[20:21], v[68:69]
	v_fma_f64 v[68:69], v[13:14], s[14:15], v[68:69]
	;; [unrolled: 1-line block ×3, first 2 shown]
	v_add_f64 v[87:88], v[125:126], v[111:112]
	v_add_f64 v[70:71], v[70:71], v[72:73]
	v_mul_f64 v[111:112], v[64:65], s[36:37]
	v_mul_f64 v[64:65], v[64:65], s[40:41]
	;; [unrolled: 1-line block ×3, first 2 shown]
	v_fma_f64 v[80:81], v[58:59], s[18:19], -v[127:128]
	v_fma_f64 v[119:120], v[29:30], s[22:23], v[129:130]
	v_fma_f64 v[58:59], v[58:59], s[42:43], v[105:106]
	v_add_f64 v[21:22], v[21:22], v[56:57]
	v_add_f64 v[103:104], v[113:114], v[103:104]
	v_fma_f64 v[105:106], v[11:12], s[24:25], v[51:52]
	v_mul_f64 v[56:57], v[35:36], s[14:15]
	v_mul_f64 v[43:44], v[35:36], s[30:31]
	v_add_f64 v[37:38], v[76:77], v[37:38]
	v_mul_f64 v[76:77], v[23:24], s[0:1]
	v_mul_f64 v[82:83], v[23:24], s[42:43]
	v_add_f64 v[74:75], v[93:94], v[74:75]
	v_mul_f64 v[93:94], v[23:24], s[34:35]
	v_fma_f64 v[113:114], v[15:16], s[42:43], -v[131:132]
	v_add_f64 v[97:98], v[109:110], v[97:98]
	v_add_f64 v[27:28], v[68:69], v[27:28]
	v_fma_f64 v[68:69], v[29:30], s[24:25], v[60:61]
	v_fma_f64 v[60:61], v[29:30], s[28:29], v[60:61]
	v_fma_f64 v[29:30], v[29:30], s[46:47], v[117:118]
	v_add_f64 v[1:2], v[13:14], v[1:2]
	v_fma_f64 v[115:116], v[33:34], s[34:35], v[111:112]
	v_fma_f64 v[13:14], v[11:12], s[30:31], v[54:55]
	v_fma_f64 v[111:112], v[33:34], s[34:35], -v[111:112]
	v_fma_f64 v[54:55], v[11:12], s[36:37], v[54:55]
	v_add_f64 v[66:67], v[66:67], v[70:71]
	v_fma_f64 v[70:71], v[11:12], s[48:49], v[62:63]
	v_add_f64 v[80:81], v[80:81], v[107:108]
	v_add_f64 v[95:96], v[119:120], v[95:96]
	;; [unrolled: 1-line block ×5, first 2 shown]
	v_fma_f64 v[109:110], v[15:16], s[42:43], v[131:132]
	v_fma_f64 v[107:108], v[15:16], s[34:35], v[43:44]
	v_fma_f64 v[43:44], v[15:16], s[34:35], -v[43:44]
	v_fma_f64 v[58:59], v[9:10], s[36:37], v[93:94]
	v_fma_f64 v[93:94], v[9:10], s[30:31], v[93:94]
	;; [unrolled: 1-line block ×4, first 2 shown]
	v_add_f64 v[68:69], v[68:69], v[97:98]
	v_fma_f64 v[97:98], v[33:34], s[44:45], v[64:65]
	v_fma_f64 v[64:65], v[33:34], s[44:45], -v[64:65]
	v_add_f64 v[27:28], v[60:61], v[27:28]
	v_fma_f64 v[60:61], v[11:12], s[40:41], v[62:63]
	v_mul_f64 v[62:63], v[35:36], s[24:25]
	v_mul_f64 v[35:36], v[35:36], s[16:17]
	v_fma_f64 v[33:34], v[33:34], s[26:27], v[101:102]
	v_mul_f64 v[101:102], v[23:24], s[18:19]
	v_mul_f64 v[23:24], v[23:24], s[26:27]
	v_fma_f64 v[11:12], v[11:12], s[28:29], v[51:52]
	v_add_f64 v[1:2], v[29:30], v[1:2]
	v_fma_f64 v[29:30], v[15:16], s[0:1], -v[56:57]
	v_fma_f64 v[51:52], v[9:10], s[14:15], v[76:77]
	v_add_f64 v[54:55], v[54:55], v[74:75]
	v_add_f64 v[80:81], v[111:112], v[80:81]
	;; [unrolled: 1-line block ×4, first 2 shown]
	v_fma_f64 v[56:57], v[15:16], s[0:1], v[56:57]
	v_fma_f64 v[76:77], v[9:10], s[20:21], v[76:77]
	v_add_f64 v[13:14], v[82:83], v[78:79]
	v_add_f64 v[68:69], v[70:71], v[68:69]
	;; [unrolled: 1-line block ×5, first 2 shown]
	v_fma_f64 v[64:65], v[15:16], s[26:27], v[62:63]
	v_fma_f64 v[66:67], v[15:16], s[18:19], -v[35:36]
	v_fma_f64 v[62:63], v[15:16], s[26:27], -v[62:63]
	v_fma_f64 v[70:71], v[9:10], s[16:17], v[101:102]
	v_fma_f64 v[97:98], v[9:10], s[24:25], v[23:24]
	;; [unrolled: 1-line block ×5, first 2 shown]
	v_add_f64 v[115:116], v[33:34], v[21:22]
	v_add_f64 v[117:118], v[11:12], v[1:2]
	v_add_f64 v[1:2], v[31:32], v[45:46]
	v_add_f64 v[31:32], v[29:30], v[91:92]
	v_add_f64 v[29:30], v[51:52], v[103:104]
	v_add_f64 v[15:16], v[113:114], v[39:40]
	v_add_f64 v[11:12], v[109:110], v[25:26]
	v_add_f64 v[27:28], v[43:44], v[49:50]
	v_add_f64 v[25:26], v[93:94], v[99:100]
	v_add_f64 v[9:10], v[72:73], v[41:42]
	v_add_f64 v[23:24], v[107:108], v[89:90]
	v_add_f64 v[21:22], v[58:59], v[47:48]
	v_add_f64 v[43:44], v[64:65], v[87:88]
	v_add_f64 v[39:40], v[66:67], v[37:38]
	v_add_f64 v[35:36], v[62:63], v[80:81]
	v_add_f64 v[37:38], v[70:71], v[60:61]
	v_add_f64 v[33:34], v[97:98], v[54:55]
	v_mov_b32_e32 v54, 4
	v_add_f64 v[41:42], v[111:112], v[95:96]
	v_add_f64 v[47:48], v[105:106], v[74:75]
	;; [unrolled: 1-line block ×5, first 2 shown]
	v_mul_u32_u24_e32 v55, 0x750, v85
	v_lshlrev_b32_sdwa v54, v54, v86 dst_sel:DWORD dst_unused:UNUSED_PAD src0_sel:DWORD src1_sel:WORD_0
	v_add3_u32 v54, 0, v55, v54
	ds_write_b128 v54, v[5:8]
	ds_write_b128 v54, v[29:32] offset:144
	ds_write_b128 v54, v[37:40] offset:288
	;; [unrolled: 1-line block ×12, first 2 shown]
.LBB0_12:
	s_or_b32 exec_lo, exec_lo, s50
	v_mul_lo_u16 v1, v85, 20
	s_waitcnt vmcnt(0) lgkmcnt(0)
	s_barrier
	buffer_gl0_inv
	v_mov_b32_e32 v4, 4
	v_lshrrev_b16 v78, 8, v1
	s_mov_b32 s0, 0x667f3bcd
	s_mov_b32 s1, 0xbfe6a09e
	;; [unrolled: 1-line block ×3, first 2 shown]
	v_lshlrev_b32_sdwa v80, v4, v86 dst_sel:DWORD dst_unused:UNUSED_PAD src0_sel:DWORD src1_sel:WORD_0
	v_mul_lo_u16 v1, v78, 13
	s_mov_b32 s14, s0
	v_sub_nc_u16 v1, v85, v1
	v_and_b32_e32 v79, 0xff, v1
	v_mul_u32_u24_e32 v1, 7, v79
	v_lshlrev_b32_e32 v1, 4, v1
	s_clause 0x6
	global_load_dwordx4 v[5:8], v1, s[6:7]
	global_load_dwordx4 v[9:12], v1, s[6:7] offset:16
	global_load_dwordx4 v[13:16], v1, s[6:7] offset:48
	global_load_dwordx4 v[17:20], v1, s[6:7] offset:80
	global_load_dwordx4 v[21:24], v1, s[6:7] offset:64
	global_load_dwordx4 v[25:28], v1, s[6:7] offset:32
	global_load_dwordx4 v[29:32], v1, s[6:7] offset:96
	v_mul_u32_u24_e32 v1, 0x90, v85
	v_add3_u32 v3, 0, v1, v80
	ds_read_b128 v[33:36], v3 offset:3744
	ds_read_b128 v[37:40], v3 offset:7488
	;; [unrolled: 1-line block ×7, first 2 shown]
	ds_read_b128 v[62:65], v3
	s_waitcnt vmcnt(0) lgkmcnt(0)
	s_barrier
	buffer_gl0_inv
	v_mul_f64 v[1:2], v[35:36], v[7:8]
	v_mul_f64 v[7:8], v[33:34], v[7:8]
	;; [unrolled: 1-line block ×14, first 2 shown]
	v_fma_f64 v[1:2], v[33:34], v[5:6], v[1:2]
	v_fma_f64 v[5:6], v[35:36], v[5:6], -v[7:8]
	v_fma_f64 v[7:8], v[37:38], v[9:10], v[66:67]
	v_fma_f64 v[9:10], v[39:40], v[9:10], -v[11:12]
	;; [unrolled: 2-line block ×7, first 2 shown]
	v_add_f64 v[11:12], v[62:63], -v[11:12]
	v_add_f64 v[13:14], v[64:65], -v[13:14]
	;; [unrolled: 1-line block ×8, first 2 shown]
	v_fma_f64 v[31:32], v[62:63], 2.0, -v[11:12]
	v_fma_f64 v[33:34], v[64:65], 2.0, -v[13:14]
	;; [unrolled: 1-line block ×6, first 2 shown]
	v_add_f64 v[35:36], v[11:12], v[17:18]
	v_add_f64 v[37:38], v[13:14], -v[15:16]
	v_fma_f64 v[15:16], v[23:24], 2.0, -v[27:28]
	v_fma_f64 v[17:18], v[25:26], 2.0, -v[29:30]
	v_add_f64 v[23:24], v[19:20], v[29:30]
	v_add_f64 v[25:26], v[21:22], -v[27:28]
	v_add_f64 v[27:28], v[31:32], -v[7:8]
	;; [unrolled: 1-line block ×3, first 2 shown]
	v_fma_f64 v[39:40], v[11:12], 2.0, -v[35:36]
	v_fma_f64 v[41:42], v[13:14], 2.0, -v[37:38]
	v_add_f64 v[7:8], v[1:2], -v[15:16]
	v_add_f64 v[9:10], v[5:6], -v[17:18]
	v_fma_f64 v[19:20], v[19:20], 2.0, -v[23:24]
	v_fma_f64 v[17:18], v[21:22], 2.0, -v[25:26]
	v_fma_f64 v[11:12], v[23:24], s[14:15], v[35:36]
	v_fma_f64 v[13:14], v[25:26], s[14:15], v[37:38]
	v_fma_f64 v[31:32], v[31:32], 2.0, -v[27:28]
	v_fma_f64 v[33:34], v[33:34], 2.0, -v[29:30]
	;; [unrolled: 1-line block ×4, first 2 shown]
	v_fma_f64 v[21:22], v[19:20], s[0:1], v[39:40]
	v_fma_f64 v[43:44], v[17:18], s[0:1], v[41:42]
	v_add_f64 v[5:6], v[27:28], v[9:10]
	v_add_f64 v[7:8], v[29:30], -v[7:8]
	v_fma_f64 v[9:10], v[25:26], s[14:15], v[11:12]
	v_fma_f64 v[11:12], v[23:24], s[0:1], v[13:14]
	v_add_f64 v[13:14], v[31:32], -v[1:2]
	v_add_f64 v[15:16], v[33:34], -v[15:16]
	v_fma_f64 v[17:18], v[17:18], s[14:15], v[21:22]
	v_fma_f64 v[19:20], v[19:20], s[0:1], v[43:44]
	v_and_b32_e32 v1, 0xffff, v78
	v_fma_f64 v[21:22], v[27:28], 2.0, -v[5:6]
	v_fma_f64 v[23:24], v[29:30], 2.0, -v[7:8]
	;; [unrolled: 1-line block ×4, first 2 shown]
	v_mad_u32_u24 v1, 0x68, v1, v79
	s_or_b32 s0, s33, vcc_lo
	v_mul_u32_u24_e32 v1, 0x90, v1
	v_add3_u32 v1, 0, v1, v80
	v_fma_f64 v[29:30], v[31:32], 2.0, -v[13:14]
	v_fma_f64 v[31:32], v[33:34], 2.0, -v[15:16]
	;; [unrolled: 1-line block ×4, first 2 shown]
	ds_write_b128 v1, v[5:8] offset:11232
	ds_write_b128 v1, v[9:12] offset:13104
	;; [unrolled: 1-line block ×6, first 2 shown]
	ds_write_b128 v1, v[29:32]
	ds_write_b128 v1, v[33:36] offset:1872
	s_waitcnt lgkmcnt(0)
	s_barrier
	buffer_gl0_inv
	s_and_saveexec_b32 s1, s0
	s_cbranch_execz .LBB0_14
; %bb.13:
	v_add_nc_u32_e32 v5, 0x4e, v85
	v_subrev_nc_u32_e32 v1, 26, v85
	v_cmp_gt_u32_e32 vcc_lo, 0xea, v0
	v_add_nc_u32_e32 v7, 52, v85
	v_mov_b32_e32 v2, 0
	v_subrev_nc_u32_e32 v8, 52, v85
	v_add_nc_u32_e32 v6, 26, v85
	v_cndmask_b32_e32 v1, v1, v5, vcc_lo
	v_cmp_gt_u32_e32 vcc_lo, 0x1d4, v0
	v_add_nc_u32_e32 v10, 0xffffffb2, v85
	v_add_nc_u32_e32 v11, 0xffffff98, v85
	v_mov_b32_e32 v122, v2
	v_add_nc_u32_e32 v9, 0x68, v1
	v_cndmask_b32_e32 v121, v8, v7, vcc_lo
	v_cmp_gt_u32_e32 vcc_lo, 0x2be, v0
	s_load_dwordx2 s[0:1], s[4:5], 0x8
	v_mov_b32_e32 v126, v2
	v_mul_lo_u32 v12, v53, v9
	v_lshlrev_b64 v[8:9], 4, v[1:2]
	v_cndmask_b32_e32 v123, v10, v6, vcc_lo
	v_lshlrev_b64 v[20:21], 4, v[121:122]
	v_mov_b32_e32 v124, v2
	v_mul_lo_u32 v26, v53, v1
	v_add_nc_u32_e32 v27, 0x68, v121
	v_add_co_u32 v8, vcc_lo, s6, v8
	v_add_co_ci_u32_e32 v9, vcc_lo, s7, v9, vcc_lo
	v_cmp_gt_u32_e32 vcc_lo, 0x3a8, v0
	v_lshlrev_b64 v[22:23], 4, v[123:124]
	v_bfe_u32 v10, v12, 8, 8
	v_lshlrev_b32_sdwa v12, v4, v12 dst_sel:DWORD dst_unused:UNUSED_PAD src0_sel:DWORD src1_sel:BYTE_0
	v_mul_lo_u32 v2, v53, v27
	v_cndmask_b32_e32 v125, v11, v85, vcc_lo
	v_add_co_u32 v20, vcc_lo, s6, v20
	v_add_co_ci_u32_e32 v21, vcc_lo, s7, v21, vcc_lo
	v_lshlrev_b64 v[24:25], 4, v[125:126]
	v_lshl_or_b32 v16, v10, 4, 0x1000
	global_load_dwordx4 v[8:11], v[8:9], off offset:1456
	s_waitcnt lgkmcnt(0)
	s_clause 0x1
	global_load_dwordx4 v[12:15], v12, s[0:1]
	global_load_dwordx4 v[16:19], v16, s[0:1]
	v_bfe_u32 v32, v26, 8, 8
	v_add_co_u32 v24, vcc_lo, s6, v24
	v_add_co_ci_u32_e32 v25, vcc_lo, s7, v25, vcc_lo
	v_add_co_u32 v28, vcc_lo, s6, v22
	v_add_co_ci_u32_e32 v29, vcc_lo, s7, v23, vcc_lo
	global_load_dwordx4 v[20:23], v[20:21], off offset:1456
	v_lshlrev_b32_sdwa v33, v4, v26 dst_sel:DWORD dst_unused:UNUSED_PAD src0_sel:DWORD src1_sel:BYTE_0
	s_clause 0x1
	global_load_dwordx4 v[24:27], v[24:25], off offset:1456
	global_load_dwordx4 v[28:31], v[28:29], off offset:1456
	v_bfe_u32 v40, v2, 8, 8
	v_add_nc_u32_e32 v41, 0x68, v123
	v_lshlrev_b32_sdwa v2, v4, v2 dst_sel:DWORD dst_unused:UNUSED_PAD src0_sel:DWORD src1_sel:BYTE_0
	v_lshl_or_b32 v36, v32, 4, 0x1000
	s_clause 0x1
	global_load_dwordx4 v[32:35], v33, s[0:1]
	global_load_dwordx4 v[36:39], v36, s[0:1]
	v_lshl_or_b32 v44, v40, 4, 0x1000
	v_mul_lo_u32 v56, v53, v41
	s_clause 0x1
	global_load_dwordx4 v[40:43], v2, s[0:1]
	global_load_dwordx4 v[44:47], v44, s[0:1]
	v_add_nc_u32_e32 v2, 0x68, v125
	v_mul_lo_u32 v48, v53, v121
	v_mul_lo_u32 v57, v53, v123
	;; [unrolled: 1-line block ×3, first 2 shown]
	v_bfe_u32 v58, v56, 8, 8
	v_mul_lo_u32 v2, v53, v2
	v_lshlrev_b32_sdwa v65, v4, v56 dst_sel:DWORD dst_unused:UNUSED_PAD src0_sel:DWORD src1_sel:BYTE_0
	v_mad_u64_u32 v[126:127], null, s8, v84, 0
	v_bfe_u32 v49, v48, 8, 8
	v_bfe_u32 v59, v57, 8, 8
	;; [unrolled: 1-line block ×3, first 2 shown]
	v_lshlrev_b32_sdwa v48, v4, v48 dst_sel:DWORD dst_unused:UNUSED_PAD src0_sel:DWORD src1_sel:BYTE_0
	v_lshlrev_b32_sdwa v56, v4, v57 dst_sel:DWORD dst_unused:UNUSED_PAD src0_sel:DWORD src1_sel:BYTE_0
	v_bfe_u32 v66, v2, 8, 8
	v_lshl_or_b32 v52, v49, 4, 0x1000
	v_lshl_or_b32 v60, v59, 4, 0x1000
	;; [unrolled: 1-line block ×3, first 2 shown]
	v_lshlrev_b32_sdwa v2, v4, v2 dst_sel:DWORD dst_unused:UNUSED_PAD src0_sel:DWORD src1_sel:BYTE_0
	v_lshlrev_b32_sdwa v4, v4, v64 dst_sel:DWORD dst_unused:UNUSED_PAD src0_sel:DWORD src1_sel:BYTE_0
	v_lshl_or_b32 v76, v67, 4, 0x1000
	s_clause 0x3
	global_load_dwordx4 v[48:51], v48, s[0:1]
	global_load_dwordx4 v[52:55], v52, s[0:1]
	global_load_dwordx4 v[56:59], v56, s[0:1]
	global_load_dwordx4 v[60:63], v60, s[0:1]
	v_lshl_or_b32 v85, v66, 4, 0x1000
	s_clause 0x5
	global_load_dwordx4 v[64:67], v65, s[0:1]
	global_load_dwordx4 v[68:71], v68, s[0:1]
	;; [unrolled: 1-line block ×6, first 2 shown]
	v_cmp_lt_u32_e32 vcc_lo, 0x3a7, v0
	v_add_nc_u32_e32 v2, 0xea0, v3
	v_add_nc_u32_e32 v0, 0x2be0, v3
	;; [unrolled: 1-line block ×3, first 2 shown]
	ds_read_b128 v[89:92], v3 offset:22464
	ds_read_b128 v[93:96], v3 offset:18720
	v_cndmask_b32_e64 v122, 0, 0xd0, vcc_lo
	ds_read_b128 v[97:100], v3
	ds_read_b128 v[101:104], v3 offset:14976
	ds_read_b128 v[105:108], v3 offset:26208
	ds_read_b128 v[109:112], v2
	ds_read_b128 v[113:116], v0
	;; [unrolled: 1-line block ×3, first 2 shown]
	v_mov_b32_e32 v0, v127
	v_sub_nc_u32_e32 v3, v6, v123
	v_add_nc_u32_e32 v134, v125, v122
	v_sub_nc_u32_e32 v4, v7, v121
	v_sub_nc_u32_e32 v121, v5, v1
	v_mad_u64_u32 v[0:1], null, s9, v84, v[0:1]
	v_mad_u64_u32 v[1:2], null, s10, v134, 0
	v_add_nc_u32_e32 v84, 0x68, v134
	v_add_nc_u32_e32 v136, v3, v6
	;; [unrolled: 1-line block ×4, first 2 shown]
	v_mov_b32_e32 v127, v0
	v_mad_u64_u32 v[3:4], null, s10, v84, 0
	v_mad_u64_u32 v[5:6], null, s10, v136, 0
	;; [unrolled: 1-line block ×4, first 2 shown]
	v_add_nc_u32_e32 v139, 0x68, v7
	v_mov_b32_e32 v0, v2
	v_add_nc_u32_e32 v138, 0x68, v136
	v_add_nc_u32_e32 v140, 0x68, v137
	v_lshlrev_b64 v[125:126], 4, v[126:127]
	s_lshl_b64 s[0:1], s[2:3], 4
	v_mad_u64_u32 v[130:131], null, s10, v139, 0
	v_mad_u64_u32 v[134:135], null, s11, v134, v[0:1]
	v_mov_b32_e32 v0, v4
	v_mad_u64_u32 v[128:129], null, s10, v138, 0
	v_mad_u64_u32 v[132:133], null, s10, v140, 0
	v_mov_b32_e32 v2, v6
	s_add_u32 s0, s12, s0
	v_mov_b32_e32 v4, v122
	v_mov_b32_e32 v6, v124
	s_addc_u32 s1, s13, s1
	v_add_co_u32 v142, vcc_lo, s0, v125
	v_mad_u64_u32 v[124:125], null, s11, v84, v[0:1]
	v_add_co_ci_u32_e32 v143, vcc_lo, s1, v126, vcc_lo
	v_mad_u64_u32 v[125:126], null, s11, v136, v[2:3]
	v_mad_u64_u32 v[126:127], null, s11, v7, v[4:5]
	;; [unrolled: 1-line block ×3, first 2 shown]
	v_mov_b32_e32 v4, v131
	v_mov_b32_e32 v0, v129
	;; [unrolled: 1-line block ×5, first 2 shown]
	v_mad_u64_u32 v[136:137], null, s11, v139, v[4:5]
	v_mad_u64_u32 v[133:134], null, s11, v138, v[0:1]
	;; [unrolled: 1-line block ×3, first 2 shown]
	v_mov_b32_e32 v4, v124
	v_mov_b32_e32 v6, v125
	v_mov_b32_e32 v124, v135
	v_lshlrev_b64 v[0:1], 4, v[1:2]
	v_mov_b32_e32 v129, v133
	v_lshlrev_b64 v[2:3], 4, v[3:4]
	v_lshlrev_b64 v[4:5], 4, v[5:6]
	;; [unrolled: 1-line block ×4, first 2 shown]
	v_add_co_u32 v123, vcc_lo, v142, v0
	v_add_co_ci_u32_e32 v124, vcc_lo, v143, v1, vcc_lo
	v_mov_b32_e32 v131, v136
	v_lshlrev_b64 v[127:128], 4, v[128:129]
	v_mov_b32_e32 v133, v137
	v_lshlrev_b64 v[129:130], 4, v[130:131]
	v_lshlrev_b64 v[131:132], 4, v[132:133]
	s_waitcnt vmcnt(19) lgkmcnt(3)
	v_mul_f64 v[125:126], v[105:106], v[10:11]
	v_mul_f64 v[10:11], v[107:108], v[10:11]
	s_waitcnt vmcnt(16)
	v_mul_f64 v[134:135], v[91:92], v[22:23]
	s_waitcnt vmcnt(15)
	v_mul_f64 v[138:139], v[101:102], v[26:27]
	v_mul_f64 v[26:27], v[103:104], v[26:27]
	s_waitcnt vmcnt(14)
	v_mul_f64 v[140:141], v[95:96], v[30:31]
	v_mul_f64 v[30:31], v[93:94], v[30:31]
	;; [unrolled: 1-line block ×3, first 2 shown]
	v_fma_f64 v[0:1], v[107:108], v[8:9], -v[125:126]
	v_fma_f64 v[8:9], v[105:106], v[8:9], v[10:11]
	v_fma_f64 v[10:11], v[89:90], v[20:21], v[134:135]
	v_fma_f64 v[89:90], v[103:104], v[24:25], -v[138:139]
	v_fma_f64 v[24:25], v[101:102], v[24:25], v[26:27]
	v_fma_f64 v[26:27], v[93:94], v[28:29], v[140:141]
	v_fma_f64 v[28:29], v[95:96], v[28:29], -v[30:31]
	v_fma_f64 v[20:21], v[91:92], v[20:21], -v[22:23]
	v_add_co_u32 v91, vcc_lo, v142, v2
	v_add_co_ci_u32_e32 v92, vcc_lo, v143, v3, vcc_lo
	s_waitcnt vmcnt(12)
	v_mul_f64 v[2:3], v[34:35], v[38:39]
	v_mul_f64 v[22:23], v[32:33], v[38:39]
	s_waitcnt vmcnt(10)
	v_mul_f64 v[95:96], v[40:41], v[46:47]
	s_waitcnt lgkmcnt(1)
	v_add_f64 v[8:9], v[113:114], -v[8:9]
	s_waitcnt vmcnt(4)
	v_mul_f64 v[101:102], v[64:65], v[70:71]
	v_mul_f64 v[30:31], v[50:51], v[54:55]
	;; [unrolled: 1-line block ×5, first 2 shown]
	s_waitcnt vmcnt(2)
	v_mul_f64 v[103:104], v[74:75], v[78:79]
	v_mul_f64 v[78:79], v[72:73], v[78:79]
	;; [unrolled: 1-line block ×3, first 2 shown]
	s_waitcnt vmcnt(0)
	v_mul_f64 v[105:106], v[80:81], v[87:88]
	v_add_f64 v[89:90], v[99:100], -v[89:90]
	v_add_f64 v[24:25], v[97:98], -v[24:25]
	;; [unrolled: 1-line block ×4, first 2 shown]
	s_waitcnt lgkmcnt(0)
	v_add_f64 v[10:11], v[117:118], -v[10:11]
	v_add_f64 v[20:21], v[119:120], -v[20:21]
	;; [unrolled: 1-line block ×3, first 2 shown]
	v_mul_f64 v[18:19], v[14:15], v[18:19]
	v_mul_f64 v[46:47], v[42:43], v[46:47]
	;; [unrolled: 1-line block ×3, first 2 shown]
	v_fma_f64 v[32:33], v[32:33], v[36:37], -v[2:3]
	v_fma_f64 v[2:3], v[34:35], v[36:37], v[22:23]
	v_fma_f64 v[22:23], v[42:43], v[44:45], v[95:96]
	v_mul_f64 v[70:71], v[66:67], v[70:71]
	v_fma_f64 v[34:35], v[48:49], v[52:53], -v[30:31]
	v_fma_f64 v[30:31], v[50:51], v[52:53], v[38:39]
	v_fma_f64 v[36:37], v[66:67], v[68:69], v[101:102]
	;; [unrolled: 1-line block ×3, first 2 shown]
	v_fma_f64 v[50:51], v[113:114], 2.0, -v[8:9]
	v_fma_f64 v[48:49], v[74:75], v[76:77], v[78:79]
	v_fma_f64 v[14:15], v[14:15], v[16:17], v[54:55]
	;; [unrolled: 1-line block ×3, first 2 shown]
	v_fma_f64 v[62:63], v[99:100], 2.0, -v[89:90]
	v_fma_f64 v[58:59], v[97:98], 2.0, -v[24:25]
	;; [unrolled: 1-line block ×7, first 2 shown]
	v_fma_f64 v[56:57], v[56:57], v[60:61], -v[93:94]
	v_fma_f64 v[60:61], v[72:73], v[76:77], -v[103:104]
	;; [unrolled: 1-line block ×5, first 2 shown]
	v_mul_f64 v[46:47], v[10:11], v[22:23]
	v_mul_f64 v[22:23], v[20:21], v[22:23]
	v_fma_f64 v[18:19], v[64:65], v[68:69], -v[70:71]
	v_add_co_u32 v86, vcc_lo, v142, v4
	v_mul_f64 v[64:65], v[26:27], v[36:37]
	v_mul_f64 v[36:37], v[28:29], v[36:37]
	v_mul_f64 v[70:71], v[50:51], v[2:3]
	v_mul_f64 v[44:45], v[8:9], v[14:15]
	v_mul_f64 v[14:15], v[0:1], v[14:15]
	v_mul_f64 v[68:69], v[24:25], v[42:43]
	v_mul_f64 v[80:81], v[58:59], v[48:49]
	v_mul_f64 v[48:49], v[62:63], v[48:49]
	v_mul_f64 v[42:43], v[89:90], v[42:43]
	v_mul_f64 v[82:83], v[66:67], v[38:39]
	v_mul_f64 v[38:39], v[74:75], v[38:39]
	v_mul_f64 v[76:77], v[54:55], v[30:31]
	v_mul_f64 v[84:85], v[78:79], v[30:31]
	v_mul_f64 v[72:73], v[52:53], v[2:3]
	v_add_co_ci_u32_e32 v87, vcc_lo, v143, v5, vcc_lo
	v_add_co_u32 v93, vcc_lo, v142, v6
	v_add_co_ci_u32_e32 v94, vcc_lo, v143, v7, vcc_lo
	v_fma_f64 v[6:7], v[20:21], v[16:17], -v[46:47]
	v_fma_f64 v[4:5], v[10:11], v[16:17], v[22:23]
	v_fma_f64 v[10:11], v[28:29], v[18:19], -v[64:65]
	v_fma_f64 v[2:3], v[0:1], v[12:13], -v[44:45]
	v_fma_f64 v[0:1], v[8:9], v[12:13], v[14:15]
	v_fma_f64 v[14:15], v[89:90], v[40:41], -v[68:69]
	v_fma_f64 v[22:23], v[62:63], v[60:61], -v[80:81]
	v_fma_f64 v[20:21], v[58:59], v[60:61], v[48:49]
	v_fma_f64 v[12:13], v[24:25], v[40:41], v[42:43]
	;; [unrolled: 1-line block ×3, first 2 shown]
	v_fma_f64 v[26:27], v[74:75], v[56:57], -v[82:83]
	v_fma_f64 v[24:25], v[66:67], v[56:57], v[38:39]
	v_fma_f64 v[30:31], v[78:79], v[34:35], -v[76:77]
	v_fma_f64 v[28:29], v[54:55], v[34:35], v[84:85]
	;; [unrolled: 2-line block ×3, first 2 shown]
	v_add_co_u32 v32, vcc_lo, v142, v121
	v_add_co_ci_u32_e32 v33, vcc_lo, v143, v122, vcc_lo
	v_add_co_u32 v34, vcc_lo, v142, v127
	v_add_co_ci_u32_e32 v35, vcc_lo, v143, v128, vcc_lo
	;; [unrolled: 2-line block ×4, first 2 shown]
	global_store_dwordx4 v[123:124], v[20:23], off
	global_store_dwordx4 v[91:92], v[12:15], off
	;; [unrolled: 1-line block ×8, first 2 shown]
.LBB0_14:
	s_endpgm
	.section	.rodata,"a",@progbits
	.p2align	6, 0x0
	.amdhsa_kernel fft_rtc_back_len208_factors_13_8_2_wgs_234_tpt_26_dim3_dp_ip_CI_sbcc_twdbase8_2step_dirReg
		.amdhsa_group_segment_fixed_size 0
		.amdhsa_private_segment_fixed_size 0
		.amdhsa_kernarg_size 88
		.amdhsa_user_sgpr_count 6
		.amdhsa_user_sgpr_private_segment_buffer 1
		.amdhsa_user_sgpr_dispatch_ptr 0
		.amdhsa_user_sgpr_queue_ptr 0
		.amdhsa_user_sgpr_kernarg_segment_ptr 1
		.amdhsa_user_sgpr_dispatch_id 0
		.amdhsa_user_sgpr_flat_scratch_init 0
		.amdhsa_user_sgpr_private_segment_size 0
		.amdhsa_wavefront_size32 1
		.amdhsa_uses_dynamic_stack 0
		.amdhsa_system_sgpr_private_segment_wavefront_offset 0
		.amdhsa_system_sgpr_workgroup_id_x 1
		.amdhsa_system_sgpr_workgroup_id_y 0
		.amdhsa_system_sgpr_workgroup_id_z 0
		.amdhsa_system_sgpr_workgroup_info 0
		.amdhsa_system_vgpr_workitem_id 0
		.amdhsa_next_free_vgpr 147
		.amdhsa_next_free_sgpr 51
		.amdhsa_reserve_vcc 1
		.amdhsa_reserve_flat_scratch 0
		.amdhsa_float_round_mode_32 0
		.amdhsa_float_round_mode_16_64 0
		.amdhsa_float_denorm_mode_32 3
		.amdhsa_float_denorm_mode_16_64 3
		.amdhsa_dx10_clamp 1
		.amdhsa_ieee_mode 1
		.amdhsa_fp16_overflow 0
		.amdhsa_workgroup_processor_mode 1
		.amdhsa_memory_ordered 1
		.amdhsa_forward_progress 0
		.amdhsa_shared_vgpr_count 0
		.amdhsa_exception_fp_ieee_invalid_op 0
		.amdhsa_exception_fp_denorm_src 0
		.amdhsa_exception_fp_ieee_div_zero 0
		.amdhsa_exception_fp_ieee_overflow 0
		.amdhsa_exception_fp_ieee_underflow 0
		.amdhsa_exception_fp_ieee_inexact 0
		.amdhsa_exception_int_div_zero 0
	.end_amdhsa_kernel
	.text
.Lfunc_end0:
	.size	fft_rtc_back_len208_factors_13_8_2_wgs_234_tpt_26_dim3_dp_ip_CI_sbcc_twdbase8_2step_dirReg, .Lfunc_end0-fft_rtc_back_len208_factors_13_8_2_wgs_234_tpt_26_dim3_dp_ip_CI_sbcc_twdbase8_2step_dirReg
                                        ; -- End function
	.section	.AMDGPU.csdata,"",@progbits
; Kernel info:
; codeLenInByte = 9452
; NumSgprs: 53
; NumVgprs: 147
; ScratchSize: 0
; MemoryBound: 1
; FloatMode: 240
; IeeeMode: 1
; LDSByteSize: 0 bytes/workgroup (compile time only)
; SGPRBlocks: 6
; VGPRBlocks: 18
; NumSGPRsForWavesPerEU: 53
; NumVGPRsForWavesPerEU: 147
; Occupancy: 6
; WaveLimiterHint : 1
; COMPUTE_PGM_RSRC2:SCRATCH_EN: 0
; COMPUTE_PGM_RSRC2:USER_SGPR: 6
; COMPUTE_PGM_RSRC2:TRAP_HANDLER: 0
; COMPUTE_PGM_RSRC2:TGID_X_EN: 1
; COMPUTE_PGM_RSRC2:TGID_Y_EN: 0
; COMPUTE_PGM_RSRC2:TGID_Z_EN: 0
; COMPUTE_PGM_RSRC2:TIDIG_COMP_CNT: 0
	.text
	.p2alignl 6, 3214868480
	.fill 48, 4, 3214868480
	.type	__hip_cuid_cf53739f8dac8ef5,@object ; @__hip_cuid_cf53739f8dac8ef5
	.section	.bss,"aw",@nobits
	.globl	__hip_cuid_cf53739f8dac8ef5
__hip_cuid_cf53739f8dac8ef5:
	.byte	0                               ; 0x0
	.size	__hip_cuid_cf53739f8dac8ef5, 1

	.ident	"AMD clang version 19.0.0git (https://github.com/RadeonOpenCompute/llvm-project roc-6.4.0 25133 c7fe45cf4b819c5991fe208aaa96edf142730f1d)"
	.section	".note.GNU-stack","",@progbits
	.addrsig
	.addrsig_sym __hip_cuid_cf53739f8dac8ef5
	.amdgpu_metadata
---
amdhsa.kernels:
  - .args:
      - .actual_access:  read_only
        .address_space:  global
        .offset:         0
        .size:           8
        .value_kind:     global_buffer
      - .address_space:  global
        .offset:         8
        .size:           8
        .value_kind:     global_buffer
      - .actual_access:  read_only
        .address_space:  global
        .offset:         16
        .size:           8
        .value_kind:     global_buffer
      - .actual_access:  read_only
        .address_space:  global
        .offset:         24
        .size:           8
        .value_kind:     global_buffer
      - .offset:         32
        .size:           8
        .value_kind:     by_value
      - .actual_access:  read_only
        .address_space:  global
        .offset:         40
        .size:           8
        .value_kind:     global_buffer
      - .actual_access:  read_only
        .address_space:  global
        .offset:         48
        .size:           8
        .value_kind:     global_buffer
      - .offset:         56
        .size:           4
        .value_kind:     by_value
      - .actual_access:  read_only
        .address_space:  global
        .offset:         64
        .size:           8
        .value_kind:     global_buffer
      - .actual_access:  read_only
        .address_space:  global
        .offset:         72
        .size:           8
        .value_kind:     global_buffer
      - .address_space:  global
        .offset:         80
        .size:           8
        .value_kind:     global_buffer
    .group_segment_fixed_size: 0
    .kernarg_segment_align: 8
    .kernarg_segment_size: 88
    .language:       OpenCL C
    .language_version:
      - 2
      - 0
    .max_flat_workgroup_size: 234
    .name:           fft_rtc_back_len208_factors_13_8_2_wgs_234_tpt_26_dim3_dp_ip_CI_sbcc_twdbase8_2step_dirReg
    .private_segment_fixed_size: 0
    .sgpr_count:     53
    .sgpr_spill_count: 0
    .symbol:         fft_rtc_back_len208_factors_13_8_2_wgs_234_tpt_26_dim3_dp_ip_CI_sbcc_twdbase8_2step_dirReg.kd
    .uniform_work_group_size: 1
    .uses_dynamic_stack: false
    .vgpr_count:     147
    .vgpr_spill_count: 0
    .wavefront_size: 32
    .workgroup_processor_mode: 1
amdhsa.target:   amdgcn-amd-amdhsa--gfx1030
amdhsa.version:
  - 1
  - 2
...

	.end_amdgpu_metadata
